;; amdgpu-corpus repo=ROCm/rocFFT kind=compiled arch=gfx1030 opt=O3
	.text
	.amdgcn_target "amdgcn-amd-amdhsa--gfx1030"
	.amdhsa_code_object_version 6
	.protected	fft_rtc_back_len2400_factors_4_10_10_6_wgs_240_tpt_240_halfLds_dp_ip_CI_sbrr_dirReg ; -- Begin function fft_rtc_back_len2400_factors_4_10_10_6_wgs_240_tpt_240_halfLds_dp_ip_CI_sbrr_dirReg
	.globl	fft_rtc_back_len2400_factors_4_10_10_6_wgs_240_tpt_240_halfLds_dp_ip_CI_sbrr_dirReg
	.p2align	8
	.type	fft_rtc_back_len2400_factors_4_10_10_6_wgs_240_tpt_240_halfLds_dp_ip_CI_sbrr_dirReg,@function
fft_rtc_back_len2400_factors_4_10_10_6_wgs_240_tpt_240_halfLds_dp_ip_CI_sbrr_dirReg: ; @fft_rtc_back_len2400_factors_4_10_10_6_wgs_240_tpt_240_halfLds_dp_ip_CI_sbrr_dirReg
; %bb.0:
	s_clause 0x2
	s_load_dwordx2 s[14:15], s[4:5], 0x18
	s_load_dwordx4 s[8:11], s[4:5], 0x0
	s_load_dwordx2 s[12:13], s[4:5], 0x50
	v_mul_u32_u24_e32 v1, 0x112, v0
	v_mov_b32_e32 v3, 0
	v_add_nc_u32_sdwa v5, s6, v1 dst_sel:DWORD dst_unused:UNUSED_PAD src0_sel:DWORD src1_sel:WORD_1
	v_mov_b32_e32 v1, 0
	v_mov_b32_e32 v6, v3
	v_mov_b32_e32 v2, 0
	s_waitcnt lgkmcnt(0)
	s_load_dwordx2 s[2:3], s[14:15], 0x0
	v_cmp_lt_u64_e64 s0, s[10:11], 2
	s_and_b32 vcc_lo, exec_lo, s0
	s_cbranch_vccnz .LBB0_8
; %bb.1:
	s_load_dwordx2 s[0:1], s[4:5], 0x10
	v_mov_b32_e32 v1, 0
	s_add_u32 s6, s14, 8
	v_mov_b32_e32 v2, 0
	s_addc_u32 s7, s15, 0
	s_mov_b64 s[18:19], 1
	s_waitcnt lgkmcnt(0)
	s_add_u32 s16, s0, 8
	s_addc_u32 s17, s1, 0
.LBB0_2:                                ; =>This Inner Loop Header: Depth=1
	s_load_dwordx2 s[20:21], s[16:17], 0x0
                                        ; implicit-def: $vgpr7_vgpr8
	s_mov_b32 s0, exec_lo
	s_waitcnt lgkmcnt(0)
	v_or_b32_e32 v4, s21, v6
	v_cmpx_ne_u64_e32 0, v[3:4]
	s_xor_b32 s1, exec_lo, s0
	s_cbranch_execz .LBB0_4
; %bb.3:                                ;   in Loop: Header=BB0_2 Depth=1
	v_cvt_f32_u32_e32 v4, s20
	v_cvt_f32_u32_e32 v7, s21
	s_sub_u32 s0, 0, s20
	s_subb_u32 s22, 0, s21
	v_fmac_f32_e32 v4, 0x4f800000, v7
	v_rcp_f32_e32 v4, v4
	v_mul_f32_e32 v4, 0x5f7ffffc, v4
	v_mul_f32_e32 v7, 0x2f800000, v4
	v_trunc_f32_e32 v7, v7
	v_fmac_f32_e32 v4, 0xcf800000, v7
	v_cvt_u32_f32_e32 v7, v7
	v_cvt_u32_f32_e32 v4, v4
	v_mul_lo_u32 v8, s0, v7
	v_mul_hi_u32 v9, s0, v4
	v_mul_lo_u32 v10, s22, v4
	v_add_nc_u32_e32 v8, v9, v8
	v_mul_lo_u32 v9, s0, v4
	v_add_nc_u32_e32 v8, v8, v10
	v_mul_hi_u32 v10, v4, v9
	v_mul_lo_u32 v11, v4, v8
	v_mul_hi_u32 v12, v4, v8
	v_mul_hi_u32 v13, v7, v9
	v_mul_lo_u32 v9, v7, v9
	v_mul_hi_u32 v14, v7, v8
	v_mul_lo_u32 v8, v7, v8
	v_add_co_u32 v10, vcc_lo, v10, v11
	v_add_co_ci_u32_e32 v11, vcc_lo, 0, v12, vcc_lo
	v_add_co_u32 v9, vcc_lo, v10, v9
	v_add_co_ci_u32_e32 v9, vcc_lo, v11, v13, vcc_lo
	v_add_co_ci_u32_e32 v10, vcc_lo, 0, v14, vcc_lo
	v_add_co_u32 v8, vcc_lo, v9, v8
	v_add_co_ci_u32_e32 v9, vcc_lo, 0, v10, vcc_lo
	v_add_co_u32 v4, vcc_lo, v4, v8
	v_add_co_ci_u32_e32 v7, vcc_lo, v7, v9, vcc_lo
	v_mul_hi_u32 v8, s0, v4
	v_mul_lo_u32 v10, s22, v4
	v_mul_lo_u32 v9, s0, v7
	v_add_nc_u32_e32 v8, v8, v9
	v_mul_lo_u32 v9, s0, v4
	v_add_nc_u32_e32 v8, v8, v10
	v_mul_hi_u32 v10, v4, v9
	v_mul_lo_u32 v11, v4, v8
	v_mul_hi_u32 v12, v4, v8
	v_mul_hi_u32 v13, v7, v9
	v_mul_lo_u32 v9, v7, v9
	v_mul_hi_u32 v14, v7, v8
	v_mul_lo_u32 v8, v7, v8
	v_add_co_u32 v10, vcc_lo, v10, v11
	v_add_co_ci_u32_e32 v11, vcc_lo, 0, v12, vcc_lo
	v_add_co_u32 v9, vcc_lo, v10, v9
	v_add_co_ci_u32_e32 v9, vcc_lo, v11, v13, vcc_lo
	v_add_co_ci_u32_e32 v10, vcc_lo, 0, v14, vcc_lo
	v_add_co_u32 v8, vcc_lo, v9, v8
	v_add_co_ci_u32_e32 v9, vcc_lo, 0, v10, vcc_lo
	v_add_co_u32 v4, vcc_lo, v4, v8
	v_add_co_ci_u32_e32 v11, vcc_lo, v7, v9, vcc_lo
	v_mul_hi_u32 v13, v5, v4
	v_mad_u64_u32 v[9:10], null, v6, v4, 0
	v_mad_u64_u32 v[7:8], null, v5, v11, 0
	;; [unrolled: 1-line block ×3, first 2 shown]
	v_add_co_u32 v4, vcc_lo, v13, v7
	v_add_co_ci_u32_e32 v7, vcc_lo, 0, v8, vcc_lo
	v_add_co_u32 v4, vcc_lo, v4, v9
	v_add_co_ci_u32_e32 v4, vcc_lo, v7, v10, vcc_lo
	v_add_co_ci_u32_e32 v7, vcc_lo, 0, v12, vcc_lo
	v_add_co_u32 v4, vcc_lo, v4, v11
	v_add_co_ci_u32_e32 v9, vcc_lo, 0, v7, vcc_lo
	v_mul_lo_u32 v10, s21, v4
	v_mad_u64_u32 v[7:8], null, s20, v4, 0
	v_mul_lo_u32 v11, s20, v9
	v_sub_co_u32 v7, vcc_lo, v5, v7
	v_add3_u32 v8, v8, v11, v10
	v_sub_nc_u32_e32 v10, v6, v8
	v_subrev_co_ci_u32_e64 v10, s0, s21, v10, vcc_lo
	v_add_co_u32 v11, s0, v4, 2
	v_add_co_ci_u32_e64 v12, s0, 0, v9, s0
	v_sub_co_u32 v13, s0, v7, s20
	v_sub_co_ci_u32_e32 v8, vcc_lo, v6, v8, vcc_lo
	v_subrev_co_ci_u32_e64 v10, s0, 0, v10, s0
	v_cmp_le_u32_e32 vcc_lo, s20, v13
	v_cmp_eq_u32_e64 s0, s21, v8
	v_cndmask_b32_e64 v13, 0, -1, vcc_lo
	v_cmp_le_u32_e32 vcc_lo, s21, v10
	v_cndmask_b32_e64 v14, 0, -1, vcc_lo
	v_cmp_le_u32_e32 vcc_lo, s20, v7
	;; [unrolled: 2-line block ×3, first 2 shown]
	v_cndmask_b32_e64 v15, 0, -1, vcc_lo
	v_cmp_eq_u32_e32 vcc_lo, s21, v10
	v_cndmask_b32_e64 v7, v15, v7, s0
	v_cndmask_b32_e32 v10, v14, v13, vcc_lo
	v_add_co_u32 v13, vcc_lo, v4, 1
	v_add_co_ci_u32_e32 v14, vcc_lo, 0, v9, vcc_lo
	v_cmp_ne_u32_e32 vcc_lo, 0, v10
	v_cndmask_b32_e32 v8, v14, v12, vcc_lo
	v_cndmask_b32_e32 v10, v13, v11, vcc_lo
	v_cmp_ne_u32_e32 vcc_lo, 0, v7
	v_cndmask_b32_e32 v8, v9, v8, vcc_lo
	v_cndmask_b32_e32 v7, v4, v10, vcc_lo
.LBB0_4:                                ;   in Loop: Header=BB0_2 Depth=1
	s_andn2_saveexec_b32 s0, s1
	s_cbranch_execz .LBB0_6
; %bb.5:                                ;   in Loop: Header=BB0_2 Depth=1
	v_cvt_f32_u32_e32 v4, s20
	s_sub_i32 s1, 0, s20
	v_rcp_iflag_f32_e32 v4, v4
	v_mul_f32_e32 v4, 0x4f7ffffe, v4
	v_cvt_u32_f32_e32 v4, v4
	v_mul_lo_u32 v7, s1, v4
	v_mul_hi_u32 v7, v4, v7
	v_add_nc_u32_e32 v4, v4, v7
	v_mul_hi_u32 v4, v5, v4
	v_mul_lo_u32 v7, v4, s20
	v_add_nc_u32_e32 v8, 1, v4
	v_sub_nc_u32_e32 v7, v5, v7
	v_subrev_nc_u32_e32 v9, s20, v7
	v_cmp_le_u32_e32 vcc_lo, s20, v7
	v_cndmask_b32_e32 v7, v7, v9, vcc_lo
	v_cndmask_b32_e32 v4, v4, v8, vcc_lo
	v_cmp_le_u32_e32 vcc_lo, s20, v7
	v_add_nc_u32_e32 v8, 1, v4
	v_cndmask_b32_e32 v7, v4, v8, vcc_lo
	v_mov_b32_e32 v8, v3
.LBB0_6:                                ;   in Loop: Header=BB0_2 Depth=1
	s_or_b32 exec_lo, exec_lo, s0
	s_load_dwordx2 s[0:1], s[6:7], 0x0
	v_mul_lo_u32 v4, v8, s20
	v_mul_lo_u32 v11, v7, s21
	v_mad_u64_u32 v[9:10], null, v7, s20, 0
	s_add_u32 s18, s18, 1
	s_addc_u32 s19, s19, 0
	s_add_u32 s6, s6, 8
	s_addc_u32 s7, s7, 0
	;; [unrolled: 2-line block ×3, first 2 shown]
	v_add3_u32 v4, v10, v11, v4
	v_sub_co_u32 v5, vcc_lo, v5, v9
	v_sub_co_ci_u32_e32 v4, vcc_lo, v6, v4, vcc_lo
	s_waitcnt lgkmcnt(0)
	v_mul_lo_u32 v6, s1, v5
	v_mul_lo_u32 v4, s0, v4
	v_mad_u64_u32 v[1:2], null, s0, v5, v[1:2]
	v_cmp_ge_u64_e64 s0, s[18:19], s[10:11]
	s_and_b32 vcc_lo, exec_lo, s0
	v_add3_u32 v2, v6, v2, v4
	s_cbranch_vccnz .LBB0_9
; %bb.7:                                ;   in Loop: Header=BB0_2 Depth=1
	v_mov_b32_e32 v5, v7
	v_mov_b32_e32 v6, v8
	s_branch .LBB0_2
.LBB0_8:
	v_mov_b32_e32 v8, v6
	v_mov_b32_e32 v7, v5
.LBB0_9:
	s_lshl_b64 s[0:1], s[10:11], 3
	v_mul_hi_u32 v3, 0x1111112, v0
	s_add_u32 s0, s14, s0
	s_addc_u32 s1, s15, s1
                                        ; implicit-def: $vgpr75
	s_load_dwordx2 s[0:1], s[0:1], 0x0
	s_load_dwordx2 s[4:5], s[4:5], 0x20
	v_mul_u32_u24_e32 v3, 0xf0, v3
	v_sub_nc_u32_e32 v74, v0, v3
	s_waitcnt lgkmcnt(0)
	v_mul_lo_u32 v4, s0, v8
	v_mul_lo_u32 v5, s1, v7
	v_mad_u64_u32 v[1:2], null, s0, v7, v[1:2]
	v_cmp_gt_u64_e32 vcc_lo, s[4:5], v[7:8]
	v_cmp_le_u64_e64 s0, s[4:5], v[7:8]
	v_add3_u32 v2, v5, v2, v4
	s_and_saveexec_b32 s1, s0
	s_xor_b32 s0, exec_lo, s1
; %bb.10:
	v_add_nc_u32_e32 v75, 0xf0, v74
; %bb.11:
	s_or_saveexec_b32 s1, s0
	v_lshlrev_b64 v[50:51], 4, v[1:2]
	v_add_nc_u32_e32 v76, 0x4b0, v74
                                        ; implicit-def: $vgpr4_vgpr5
                                        ; implicit-def: $vgpr24_vgpr25
                                        ; implicit-def: $vgpr12_vgpr13
                                        ; implicit-def: $vgpr20_vgpr21
                                        ; implicit-def: $vgpr32_vgpr33
                                        ; implicit-def: $vgpr36_vgpr37
                                        ; implicit-def: $vgpr48_vgpr49
                                        ; implicit-def: $vgpr28_vgpr29
                                        ; implicit-def: $vgpr44_vgpr45
                                        ; implicit-def: $vgpr16_vgpr17
                                        ; implicit-def: $vgpr40_vgpr41
                                        ; implicit-def: $vgpr8_vgpr9
	s_xor_b32 exec_lo, exec_lo, s1
	s_cbranch_execz .LBB0_15
; %bb.12:
	v_mad_u64_u32 v[2:3], null, s2, v74, 0
	v_add_nc_u32_e32 v6, 0x258, v74
	v_mad_u64_u32 v[10:11], null, s2, v76, 0
	v_add_nc_u32_e32 v8, 0x708, v74
	v_add_nc_u32_e32 v75, 0xf0, v74
	v_mad_u64_u32 v[4:5], null, s2, v6, 0
	v_mov_b32_e32 v0, v3
	v_mad_u64_u32 v[12:13], null, s2, v8, 0
	v_add_nc_u32_e32 v21, 0x348, v74
	v_mad_u64_u32 v[14:15], null, s2, v75, 0
	v_mad_u64_u32 v[0:1], null, s3, v74, v[0:1]
	v_mov_b32_e32 v1, v5
	v_add_nc_u32_e32 v24, 0x5a0, v74
	v_add_nc_u32_e32 v25, 0x7f8, v74
	s_mov_b32 s4, exec_lo
                                        ; implicit-def: $vgpr46_vgpr47
                                        ; implicit-def: $vgpr34_vgpr35
                                        ; implicit-def: $vgpr30_vgpr31
	v_mad_u64_u32 v[5:6], null, s3, v6, v[1:2]
	v_mov_b32_e32 v6, v11
	v_mov_b32_e32 v3, v0
	v_mad_u64_u32 v[19:20], null, s2, v24, 0
	v_add_co_u32 v0, s0, s12, v50
	v_mad_u64_u32 v[6:7], null, s3, v76, v[6:7]
	v_mov_b32_e32 v7, v13
	v_lshlrev_b64 v[2:3], 4, v[2:3]
	v_add_co_ci_u32_e64 v1, s0, s13, v51, s0
	v_lshlrev_b64 v[4:5], 4, v[4:5]
	v_mad_u64_u32 v[16:17], null, s3, v8, v[7:8]
	v_mad_u64_u32 v[17:18], null, s2, v21, 0
	v_mov_b32_e32 v11, v6
	v_add_co_u32 v2, s0, v0, v2
	v_add_co_ci_u32_e64 v3, s0, v1, v3, s0
	v_mov_b32_e32 v13, v16
	v_mad_u64_u32 v[15:16], null, s3, v75, v[15:16]
	v_mov_b32_e32 v16, v18
	v_lshlrev_b64 v[10:11], 4, v[10:11]
	v_add_co_u32 v4, s0, v0, v4
	v_lshlrev_b64 v[12:13], 4, v[12:13]
	v_mad_u64_u32 v[21:22], null, s3, v21, v[16:17]
	v_mad_u64_u32 v[22:23], null, s2, v25, 0
	v_mov_b32_e32 v16, v20
	v_add_co_ci_u32_e64 v5, s0, v1, v5, s0
	v_add_co_u32 v10, s0, v0, v10
	v_mov_b32_e32 v18, v21
	v_mad_u64_u32 v[20:21], null, s3, v24, v[16:17]
	v_mov_b32_e32 v16, v23
	v_lshlrev_b64 v[14:15], 4, v[14:15]
	v_add_co_ci_u32_e64 v11, s0, v1, v11, s0
	v_add_co_u32 v12, s0, v0, v12
	v_mad_u64_u32 v[23:24], null, s3, v25, v[16:17]
	v_lshlrev_b64 v[16:17], 4, v[17:18]
	v_add_co_ci_u32_e64 v13, s0, v1, v13, s0
	v_add_co_u32 v14, s0, v0, v14
	v_add_co_ci_u32_e64 v15, s0, v1, v15, s0
	v_lshlrev_b64 v[18:19], 4, v[19:20]
	v_add_co_u32 v20, s0, v0, v16
	v_add_co_ci_u32_e64 v21, s0, v1, v17, s0
	v_lshlrev_b64 v[16:17], 4, v[22:23]
	v_add_co_u32 v18, s0, v0, v18
	v_add_co_ci_u32_e64 v19, s0, v1, v19, s0
	s_clause 0x1
	global_load_dwordx4 v[6:9], v[2:3], off
	global_load_dwordx4 v[2:5], v[4:5], off
	v_add_co_u32 v26, s0, v0, v16
	v_add_co_ci_u32_e64 v27, s0, v1, v17, s0
	s_clause 0x5
	global_load_dwordx4 v[22:25], v[10:11], off
	global_load_dwordx4 v[38:41], v[12:13], off
	;; [unrolled: 1-line block ×6, first 2 shown]
                                        ; implicit-def: $vgpr26_vgpr27
	v_cmpx_gt_u32_e32 0x78, v74
	s_cbranch_execz .LBB0_14
; %bb.13:
	v_add_nc_u32_e32 v34, 0x1e0, v74
	v_add_nc_u32_e32 v36, 0x438, v74
	v_add_nc_u32_e32 v37, 0x690, v74
	v_add_nc_u32_e32 v46, 0x8e8, v74
	v_mad_u64_u32 v[26:27], null, s2, v34, 0
	v_mad_u64_u32 v[28:29], null, s2, v36, 0
	;; [unrolled: 1-line block ×7, first 2 shown]
	v_mov_b32_e32 v27, v34
	v_mad_u64_u32 v[46:47], null, s3, v46, v[33:34]
	v_mov_b32_e32 v29, v35
	v_mov_b32_e32 v31, v36
	v_lshlrev_b64 v[26:27], 4, v[26:27]
	v_lshlrev_b64 v[28:29], 4, v[28:29]
	v_mov_b32_e32 v33, v46
	v_lshlrev_b64 v[30:31], 4, v[30:31]
	v_add_co_u32 v26, s0, v0, v26
	v_add_co_ci_u32_e64 v27, s0, v1, v27, s0
	v_add_co_u32 v34, s0, v0, v28
	v_add_co_ci_u32_e64 v35, s0, v1, v29, s0
	v_lshlrev_b64 v[28:29], 4, v[32:33]
	v_add_co_u32 v36, s0, v0, v30
	v_add_co_ci_u32_e64 v37, s0, v1, v31, s0
	v_add_co_u32 v0, s0, v0, v28
	v_add_co_ci_u32_e64 v1, s0, v1, v29, s0
	s_clause 0x3
	global_load_dwordx4 v[26:29], v[26:27], off
	global_load_dwordx4 v[30:33], v[34:35], off
	;; [unrolled: 1-line block ×4, first 2 shown]
.LBB0_14:
	s_or_b32 exec_lo, exec_lo, s4
.LBB0_15:
	s_or_b32 exec_lo, exec_lo, s1
	s_waitcnt vmcnt(5)
	v_add_f64 v[0:1], v[6:7], -v[22:23]
	s_waitcnt vmcnt(4)
	v_add_f64 v[22:23], v[2:3], -v[38:39]
	;; [unrolled: 2-line block ×4, first 2 shown]
	v_add_f64 v[40:41], v[4:5], -v[40:41]
	v_add_f64 v[34:35], v[26:27], -v[34:35]
	;; [unrolled: 1-line block ×3, first 2 shown]
	v_cmp_gt_u32_e64 s0, 0x78, v74
	v_fma_f64 v[42:43], v[6:7], 2.0, -v[0:1]
	v_add_f64 v[6:7], v[30:31], -v[46:47]
	v_fma_f64 v[2:3], v[2:3], 2.0, -v[22:23]
	v_fma_f64 v[60:61], v[14:15], 2.0, -v[56:57]
	;; [unrolled: 1-line block ×3, first 2 shown]
	v_add_f64 v[10:11], v[32:33], -v[48:49]
	v_add_f64 v[47:48], v[40:41], v[0:1]
	v_fma_f64 v[14:15], v[26:27], 2.0, -v[34:35]
	v_add_f64 v[54:55], v[38:39], v[56:57]
	v_fma_f64 v[26:27], v[30:31], 2.0, -v[6:7]
	v_add_f64 v[45:46], v[42:43], -v[2:3]
	v_add_f64 v[52:53], v[60:61], -v[52:53]
	v_add_f64 v[2:3], v[10:11], v[34:35]
	v_fma_f64 v[58:59], v[0:1], 2.0, -v[47:48]
	v_fma_f64 v[62:63], v[56:57], 2.0, -v[54:55]
	v_add_f64 v[0:1], v[14:15], -v[26:27]
	v_fma_f64 v[56:57], v[42:43], 2.0, -v[45:46]
	v_add_nc_u32_e32 v26, 0x1e0, v74
	v_fma_f64 v[60:61], v[60:61], 2.0, -v[52:53]
	v_lshl_add_u32 v43, v74, 5, 0
	v_lshl_add_u32 v42, v75, 5, 0
	ds_write_b128 v43, v[45:48] offset:16
	ds_write_b128 v42, v[52:55] offset:16
	ds_write_b128 v43, v[56:59]
	ds_write_b128 v42, v[60:63]
	v_lshl_add_u32 v44, v26, 5, 0
	s_and_saveexec_b32 s1, s0
	s_cbranch_execz .LBB0_17
; %bb.16:
	v_fma_f64 v[47:48], v[34:35], 2.0, -v[2:3]
	v_fma_f64 v[45:46], v[14:15], 2.0, -v[0:1]
	ds_write_b128 v44, v[45:48]
	ds_write_b128 v44, v[0:3] offset:16
.LBB0_17:
	s_or_b32 exec_lo, exec_lo, s1
	v_add_f64 v[52:53], v[8:9], -v[24:25]
	v_add_f64 v[20:21], v[16:17], -v[20:21]
	v_fma_f64 v[4:5], v[4:5], 2.0, -v[40:41]
	v_fma_f64 v[12:13], v[12:13], 2.0, -v[38:39]
	v_add_f64 v[24:25], v[28:29], -v[36:37]
	s_waitcnt lgkmcnt(0)
	s_barrier
	buffer_gl0_inv
	v_mul_i32_i24_e32 v34, 0xffffffe8, v74
	v_fma_f64 v[39:40], v[8:9], 2.0, -v[52:53]
	v_fma_f64 v[16:17], v[16:17], 2.0, -v[20:21]
	v_add_f64 v[37:38], v[52:53], -v[22:23]
	v_add_f64 v[47:48], v[20:21], -v[18:19]
	v_fma_f64 v[26:27], v[28:29], 2.0, -v[24:25]
	v_mad_i32_i24 v8, 0xffffffe8, v74, v43
	v_mad_i32_i24 v9, 0xffffffe8, v75, v42
	v_add_f64 v[6:7], v[24:25], -v[6:7]
	ds_read_b64 v[28:29], v8
	ds_read_b64 v[30:31], v9
	v_add_nc_u32_e32 v18, 0x2d00, v8
	v_add_nc_u32_e32 v22, 0x3c00, v8
	v_add_f64 v[35:36], v[39:40], -v[4:5]
	v_fma_f64 v[4:5], v[32:33], 2.0, -v[10:11]
	v_add_f64 v[45:46], v[16:17], -v[12:13]
	v_add_nc_u32_e32 v10, 0xf00, v8
	v_add_nc_u32_e32 v12, 0x1e00, v8
	v_fma_f64 v[54:55], v[52:53], 2.0, -v[37:38]
	ds_read2_b64 v[8:11], v10 offset1:240
	ds_read2_b64 v[12:15], v12 offset1:240
	v_fma_f64 v[58:59], v[20:21], 2.0, -v[47:48]
	v_mul_i32_i24_e32 v33, 0xffffffe8, v75
	v_fma_f64 v[52:53], v[39:40], 2.0, -v[35:36]
	v_add_f64 v[4:5], v[26:27], -v[4:5]
	v_fma_f64 v[56:57], v[16:17], 2.0, -v[45:46]
	ds_read2_b64 v[16:19], v18 offset1:240
	ds_read2_b64 v[20:23], v22 offset1:240
	s_waitcnt lgkmcnt(0)
	s_barrier
	buffer_gl0_inv
	ds_write_b128 v43, v[35:38] offset:16
	ds_write_b128 v43, v[52:55]
	ds_write_b128 v42, v[56:59]
	ds_write_b128 v42, v[45:48] offset:16
	s_and_saveexec_b32 s1, s0
	s_cbranch_execz .LBB0_19
; %bb.18:
	v_fma_f64 v[35:36], v[26:27], 2.0, -v[4:5]
	v_fma_f64 v[37:38], v[24:25], 2.0, -v[6:7]
	ds_write_b128 v44, v[35:38]
	ds_write_b128 v44, v[4:7] offset:16
.LBB0_19:
	s_or_b32 exec_lo, exec_lo, s1
	v_and_b32_e32 v32, 3, v74
	s_waitcnt lgkmcnt(0)
	s_barrier
	buffer_gl0_inv
	v_add_nc_u32_e32 v77, v43, v34
	v_mul_u32_u24_e32 v24, 9, v32
	v_add_nc_u32_e32 v78, v42, v33
	s_mov_b32 s6, 0x134454ff
	s_mov_b32 s7, 0xbfee6f0e
	v_add_nc_u32_e32 v36, 0x2d00, v77
	v_lshlrev_b32_e32 v35, 4, v24
	v_add_nc_u32_e32 v34, 0x1e00, v77
	v_add_nc_u32_e32 v37, 0x3c00, v77
	s_mov_b32 s5, 0x3fee6f0e
	s_mov_b32 s4, s6
	s_clause 0x8
	global_load_dwordx4 v[38:41], v35, s[8:9] offset:32
	global_load_dwordx4 v[44:47], v35, s[8:9] offset:64
	;; [unrolled: 1-line block ×6, first 2 shown]
	global_load_dwordx4 v[24:27], v35, s[8:9]
	global_load_dwordx4 v[68:71], v35, s[8:9] offset:80
	global_load_dwordx4 v[79:82], v35, s[8:9] offset:112
	v_add_nc_u32_e32 v35, 0xf00, v77
	s_mov_b32 s14, 0x4755a5e
	s_mov_b32 s15, 0xbfe2cf23
	;; [unrolled: 1-line block ×3, first 2 shown]
	ds_read2_b64 v[83:86], v35 offset1:240
	ds_read2_b64 v[87:90], v34 offset1:240
	;; [unrolled: 1-line block ×4, first 2 shown]
	ds_read_b64 v[107:108], v78
	s_mov_b32 s10, s14
	s_mov_b32 s16, 0x372fe950
	;; [unrolled: 1-line block ×9, first 2 shown]
	v_and_b32_e32 v33, 0xff, v74
	v_lshrrev_b32_e32 v121, 2, v74
	v_mul_lo_u16 v33, 0xcd, v33
	s_waitcnt vmcnt(8)
	v_mul_f64 v[48:49], v[10:11], v[40:41]
	s_waitcnt vmcnt(7)
	v_mul_f64 v[72:73], v[14:15], v[46:47]
	;; [unrolled: 2-line block ×4, first 2 shown]
	s_waitcnt lgkmcnt(4)
	v_mul_f64 v[40:41], v[85:86], v[40:41]
	s_waitcnt lgkmcnt(3)
	v_mul_f64 v[46:47], v[89:90], v[46:47]
	;; [unrolled: 2-line block ×3, first 2 shown]
	s_waitcnt vmcnt(2)
	v_mul_f64 v[105:106], v[30:31], v[26:27]
	s_waitcnt lgkmcnt(1)
	v_mul_f64 v[58:59], v[97:98], v[58:59]
	v_mul_f64 v[42:43], v[83:84], v[62:63]
	;; [unrolled: 1-line block ×5, first 2 shown]
	v_fma_f64 v[48:49], v[85:86], v[38:39], -v[48:49]
	v_fma_f64 v[72:73], v[89:90], v[44:45], -v[72:73]
	;; [unrolled: 1-line block ×4, first 2 shown]
	v_fma_f64 v[10:11], v[10:11], v[38:39], v[40:41]
	s_waitcnt vmcnt(1)
	v_mul_f64 v[38:39], v[91:92], v[70:71]
	s_waitcnt vmcnt(0)
	v_mul_f64 v[40:41], v[95:96], v[81:82]
	v_fma_f64 v[14:15], v[14:15], v[44:45], v[46:47]
	v_mul_f64 v[44:45], v[16:17], v[70:71]
	v_fma_f64 v[18:19], v[18:19], v[52:53], v[54:55]
	ds_read_b64 v[52:53], v77
	s_waitcnt lgkmcnt(1)
	v_mul_f64 v[26:27], v[107:108], v[26:27]
	v_fma_f64 v[22:23], v[22:23], v[56:57], v[58:59]
	v_fma_f64 v[54:55], v[107:108], v[24:25], -v[105:106]
	v_mul_f64 v[46:47], v[20:21], v[81:82]
	v_fma_f64 v[8:9], v[8:9], v[60:61], v[42:43]
	v_fma_f64 v[12:13], v[12:13], v[64:65], v[103:104]
	s_waitcnt lgkmcnt(0)
	s_barrier
	buffer_gl0_inv
	v_add_f64 v[93:94], v[72:73], -v[48:49]
	v_add_f64 v[56:57], v[72:73], v[85:86]
	v_add_f64 v[58:59], v[48:49], v[89:90]
	v_add_f64 v[97:98], v[85:86], -v[89:90]
	v_fma_f64 v[16:17], v[16:17], v[68:69], v[38:39]
	v_fma_f64 v[20:21], v[20:21], v[79:80], v[40:41]
	v_fma_f64 v[39:40], v[83:84], v[60:61], -v[62:63]
	v_fma_f64 v[41:42], v[87:88], v[64:65], -v[66:67]
	;; [unrolled: 1-line block ×3, first 2 shown]
	v_add_f64 v[62:63], v[14:15], -v[18:19]
	v_fma_f64 v[24:25], v[30:31], v[24:25], v[26:27]
	v_add_f64 v[26:27], v[14:15], v[18:19]
	v_add_f64 v[30:31], v[10:11], -v[22:23]
	v_add_f64 v[60:61], v[10:11], v[22:23]
	v_fma_f64 v[45:46], v[95:96], v[79:80], -v[46:47]
	v_add_f64 v[83:84], v[10:11], -v[14:15]
	v_add_f64 v[87:88], v[48:49], -v[72:73]
	v_add_f64 v[91:92], v[89:90], -v[85:86]
	v_add_f64 v[101:102], v[48:49], -v[89:90]
	v_add_f64 v[103:104], v[72:73], -v[85:86]
	v_add_f64 v[111:112], v[14:15], -v[10:11]
	v_add_f64 v[64:65], v[8:9], -v[12:13]
	v_add_f64 v[68:69], v[12:13], -v[8:9]
	v_fma_f64 v[56:57], v[56:57], -0.5, v[54:55]
	v_fma_f64 v[58:59], v[58:59], -0.5, v[54:55]
	v_add_f64 v[105:106], v[22:23], -v[18:19]
	v_add_f64 v[95:96], v[12:13], v[16:17]
	v_add_f64 v[99:100], v[8:9], v[20:21]
	v_add_f64 v[113:114], v[18:19], -v[22:23]
	v_add_f64 v[117:118], v[52:53], v[39:40]
	v_add_f64 v[93:94], v[93:94], v[97:98]
	v_add_f64 v[66:67], v[20:21], -v[16:17]
	v_add_f64 v[10:11], v[24:25], v[10:11]
	v_fma_f64 v[26:27], v[26:27], -0.5, v[24:25]
	v_add_f64 v[70:71], v[16:17], -v[20:21]
	v_fma_f64 v[60:61], v[60:61], -0.5, v[24:25]
	v_add_f64 v[24:25], v[54:55], v[48:49]
	v_add_f64 v[47:48], v[28:29], v[8:9]
	;; [unrolled: 1-line block ×4, first 2 shown]
	v_add_f64 v[119:120], v[39:40], -v[45:46]
	v_add_f64 v[87:88], v[87:88], v[91:92]
	v_add_f64 v[8:9], v[8:9], -v[20:21]
	v_add_f64 v[79:80], v[39:40], -v[41:42]
	;; [unrolled: 1-line block ×3, first 2 shown]
	v_fma_f64 v[107:108], v[30:31], s[4:5], v[56:57]
	v_fma_f64 v[109:110], v[62:63], s[6:7], v[58:59]
	;; [unrolled: 1-line block ×4, first 2 shown]
	v_fma_f64 v[91:92], v[95:96], -0.5, v[28:29]
	v_fma_f64 v[28:29], v[99:100], -0.5, v[28:29]
	v_add_f64 v[95:96], v[41:42], -v[43:44]
	v_add_f64 v[39:40], v[41:42], -v[39:40]
	v_add_f64 v[41:42], v[117:118], v[41:42]
	v_add_f64 v[10:11], v[10:11], v[14:15]
	v_fma_f64 v[97:98], v[101:102], s[6:7], v[26:27]
	v_fma_f64 v[26:27], v[101:102], s[4:5], v[26:27]
	;; [unrolled: 1-line block ×4, first 2 shown]
	v_add_f64 v[24:25], v[24:25], v[72:73]
	v_add_f64 v[64:65], v[64:65], v[66:67]
	;; [unrolled: 1-line block ×3, first 2 shown]
	v_lshrrev_b16 v38, 13, v33
	v_add_f64 v[79:80], v[79:80], v[81:82]
	v_fma_f64 v[107:108], v[62:63], s[10:11], v[107:108]
	v_fma_f64 v[109:110], v[30:31], s[10:11], v[109:110]
	;; [unrolled: 1-line block ×3, first 2 shown]
	v_add_f64 v[58:59], v[12:13], -v[16:17]
	v_add_f64 v[12:13], v[47:48], v[12:13]
	v_fma_f64 v[47:48], v[54:55], -0.5, v[52:53]
	v_fma_f64 v[52:53], v[115:116], -0.5, v[52:53]
	v_fma_f64 v[56:57], v[62:63], s[14:15], v[56:57]
	v_add_f64 v[62:63], v[43:44], -v[45:46]
	v_add_f64 v[54:55], v[83:84], v[105:106]
	v_add_f64 v[83:84], v[111:112], v[113:114]
	v_fma_f64 v[14:15], v[119:120], s[6:7], v[91:92]
	v_fma_f64 v[97:98], v[103:104], s[14:15], v[97:98]
	;; [unrolled: 1-line block ×8, first 2 shown]
	v_add_f64 v[10:11], v[10:11], v[18:19]
	v_add_f64 v[24:25], v[24:25], v[85:86]
	v_mul_lo_u16 v33, v38, 40
	v_fma_f64 v[101:102], v[87:88], s[16:17], v[107:108]
	v_fma_f64 v[103:104], v[93:94], s[16:17], v[109:110]
	v_fma_f64 v[30:31], v[93:94], s[16:17], v[30:31]
	v_add_f64 v[12:13], v[12:13], v[16:17]
	v_fma_f64 v[16:17], v[8:9], s[4:5], v[47:48]
	v_fma_f64 v[47:48], v[8:9], s[6:7], v[47:48]
	v_fma_f64 v[68:69], v[58:59], s[6:7], v[52:53]
	v_fma_f64 v[52:53], v[58:59], s[4:5], v[52:53]
	v_fma_f64 v[56:57], v[87:88], s[16:17], v[56:57]
	v_add_f64 v[62:63], v[39:40], v[62:63]
	v_fma_f64 v[14:15], v[95:96], s[14:15], v[14:15]
	v_fma_f64 v[72:73], v[54:55], s[16:17], v[97:98]
	;; [unrolled: 6-line block ×3, first 2 shown]
	v_fma_f64 v[28:29], v[119:120], s[10:11], v[28:29]
	v_add_f64 v[10:11], v[10:11], v[22:23]
	v_add_f64 v[24:25], v[24:25], v[89:90]
	v_mul_f64 v[83:84], v[101:102], s[14:15]
	v_mul_f64 v[87:88], v[103:104], s[6:7]
	;; [unrolled: 1-line block ×4, first 2 shown]
	v_add_f64 v[12:13], v[12:13], v[20:21]
	v_fma_f64 v[16:17], v[58:59], s[10:11], v[16:17]
	v_fma_f64 v[20:21], v[58:59], s[14:15], v[47:48]
	v_mul_f64 v[47:48], v[101:102], s[18:19]
	v_fma_f64 v[42:43], v[8:9], s[10:11], v[68:69]
	v_fma_f64 v[8:9], v[8:9], s[14:15], v[52:53]
	v_mul_f64 v[52:53], v[103:104], s[16:17]
	v_mul_f64 v[93:94], v[56:57], s[14:15]
	;; [unrolled: 1-line block ×3, first 2 shown]
	v_fma_f64 v[14:15], v[64:65], s[16:17], v[14:15]
	v_sub_nc_u16 v39, v74, v33
	v_add_f64 v[40:41], v[40:41], v[45:46]
	v_fma_f64 v[18:19], v[64:65], s[16:17], v[18:19]
	v_fma_f64 v[22:23], v[66:67], s[16:17], v[70:71]
	;; [unrolled: 1-line block ×3, first 2 shown]
	v_mov_b32_e32 v70, 9
	v_mul_u32_u24_e32 v71, 40, v121
	v_fma_f64 v[58:59], v[72:73], s[18:19], v[83:84]
	v_fma_f64 v[64:65], v[54:55], s[16:17], v[87:88]
	;; [unrolled: 1-line block ×4, first 2 shown]
	v_add_f64 v[44:45], v[12:13], v[10:11]
	v_fma_f64 v[16:17], v[79:80], s[16:17], v[16:17]
	v_fma_f64 v[20:21], v[79:80], s[16:17], v[20:21]
	;; [unrolled: 1-line block ×8, first 2 shown]
	v_add_f64 v[10:11], v[12:13], -v[10:11]
	v_or_b32_e32 v32, v71, v32
	v_mul_u32_u24_sdwa v33, v39, v70 dst_sel:DWORD dst_unused:UNUSED_PAD src0_sel:BYTE_0 src1_sel:DWORD
	v_lshlrev_b32_e32 v72, 4, v33
	v_add_f64 v[12:13], v[14:15], v[58:59]
	v_add_f64 v[14:15], v[14:15], -v[58:59]
	v_add_f64 v[58:59], v[40:41], v[24:25]
	v_add_f64 v[52:53], v[22:23], v[64:65]
	;; [unrolled: 1-line block ×3, first 2 shown]
	v_add_f64 v[22:23], v[22:23], -v[64:65]
	v_add_f64 v[28:29], v[28:29], -v[66:67]
	v_add_f64 v[60:61], v[16:17], v[46:47]
	v_add_f64 v[40:41], v[40:41], -v[24:25]
	v_add_f64 v[64:65], v[8:9], v[30:31]
	v_add_f64 v[62:63], v[42:43], v[48:49]
	v_add_f64 v[56:57], v[18:19], v[68:69]
	v_add_f64 v[66:67], v[20:21], v[26:27]
	v_add_f64 v[46:47], v[16:17], -v[46:47]
	v_add_f64 v[42:43], v[42:43], -v[48:49]
	;; [unrolled: 1-line block ×5, first 2 shown]
	v_lshl_add_u32 v68, v32, 3, 0
	ds_write2_b64 v68, v[44:45], v[12:13] offset1:4
	ds_write2_b64 v68, v[52:53], v[54:55] offset0:8 offset1:12
	ds_write2_b64 v68, v[56:57], v[10:11] offset0:16 offset1:20
	;; [unrolled: 1-line block ×4, first 2 shown]
	s_waitcnt lgkmcnt(0)
	s_barrier
	buffer_gl0_inv
	ds_read_b64 v[24:25], v77
	ds_read_b64 v[32:33], v78
	ds_read2_b64 v[8:11], v35 offset1:240
	ds_read2_b64 v[16:19], v34 offset1:240
	;; [unrolled: 1-line block ×4, first 2 shown]
	s_waitcnt lgkmcnt(0)
	s_barrier
	buffer_gl0_inv
	ds_write2_b64 v68, v[58:59], v[60:61] offset1:4
	ds_write2_b64 v68, v[62:63], v[64:65] offset0:8 offset1:12
	ds_write2_b64 v68, v[66:67], v[40:41] offset0:16 offset1:20
	;; [unrolled: 1-line block ×4, first 2 shown]
	s_waitcnt lgkmcnt(0)
	s_barrier
	buffer_gl0_inv
	s_clause 0x8
	global_load_dwordx4 v[40:43], v72, s[8:9] offset:608
	global_load_dwordx4 v[46:49], v72, s[8:9] offset:640
	;; [unrolled: 1-line block ×9, first 2 shown]
	ds_read2_b64 v[87:90], v35 offset1:240
	ds_read2_b64 v[91:94], v34 offset1:240
	;; [unrolled: 1-line block ×4, first 2 shown]
	ds_read_b64 v[103:104], v78
	s_waitcnt vmcnt(8)
	v_mul_f64 v[26:27], v[10:11], v[42:43]
	s_waitcnt vmcnt(7)
	v_mul_f64 v[28:29], v[18:19], v[48:49]
	;; [unrolled: 2-line block ×5, first 2 shown]
	s_waitcnt lgkmcnt(4)
	v_mul_f64 v[42:43], v[89:90], v[42:43]
	s_waitcnt lgkmcnt(3)
	v_mul_f64 v[48:49], v[93:94], v[48:49]
	;; [unrolled: 2-line block ×3, first 2 shown]
	v_mul_f64 v[54:55], v[97:98], v[54:55]
	v_fma_f64 v[34:35], v[89:90], v[40:41], -v[26:27]
	v_fma_f64 v[30:31], v[93:94], v[46:47], -v[28:29]
	;; [unrolled: 1-line block ×4, first 2 shown]
	ds_read_b64 v[44:45], v77
	s_waitcnt vmcnt(3)
	v_mul_f64 v[36:37], v[87:88], v[66:67]
	s_waitcnt vmcnt(2)
	v_mul_f64 v[89:90], v[91:92], v[70:71]
	;; [unrolled: 2-line block ×4, first 2 shown]
	v_fma_f64 v[10:11], v[10:11], v[40:41], v[42:43]
	s_waitcnt lgkmcnt(1)
	v_mul_f64 v[40:41], v[103:104], v[62:63]
	v_fma_f64 v[18:19], v[18:19], v[46:47], v[48:49]
	v_fma_f64 v[42:43], v[14:15], v[56:57], v[58:59]
	;; [unrolled: 1-line block ×3, first 2 shown]
	v_fma_f64 v[22:23], v[103:104], v[60:61], -v[72:73]
	v_mul_f64 v[52:53], v[8:9], v[66:67]
	v_mul_f64 v[62:63], v[16:17], v[70:71]
	;; [unrolled: 1-line block ×4, first 2 shown]
	s_waitcnt lgkmcnt(0)
	s_barrier
	buffer_gl0_inv
	v_add_f64 v[81:82], v[30:31], -v[34:35]
	v_add_f64 v[14:15], v[30:31], v[28:29]
	v_add_f64 v[48:49], v[34:35], v[26:27]
	v_fma_f64 v[54:55], v[8:9], v[64:65], v[36:37]
	v_fma_f64 v[46:47], v[16:17], v[68:69], v[89:90]
	;; [unrolled: 1-line block ×5, first 2 shown]
	v_add_f64 v[89:90], v[10:11], -v[18:19]
	v_add_f64 v[12:13], v[10:11], v[42:43]
	v_add_f64 v[32:33], v[18:19], v[58:59]
	v_add_f64 v[36:37], v[10:11], -v[42:43]
	v_add_f64 v[40:41], v[18:19], -v[58:59]
	;; [unrolled: 1-line block ×3, first 2 shown]
	v_fma_f64 v[16:17], v[95:96], v[79:80], -v[66:67]
	v_add_f64 v[79:80], v[34:35], -v[26:27]
	v_fma_f64 v[60:61], v[14:15], -0.5, v[22:23]
	v_fma_f64 v[72:73], v[48:49], -0.5, v[22:23]
	v_fma_f64 v[48:49], v[87:88], v[64:65], -v[52:53]
	v_fma_f64 v[52:53], v[91:92], v[68:69], -v[62:63]
	;; [unrolled: 1-line block ×3, first 2 shown]
	v_add_f64 v[62:63], v[34:35], -v[30:31]
	v_add_f64 v[64:65], v[26:27], -v[28:29]
	v_add_f64 v[66:67], v[46:47], v[20:21]
	v_add_f64 v[68:69], v[30:31], -v[28:29]
	v_add_f64 v[70:71], v[54:55], v[56:57]
	v_add_f64 v[83:84], v[28:29], -v[26:27]
	v_fma_f64 v[32:33], v[32:33], -0.5, v[8:9]
	v_fma_f64 v[12:13], v[12:13], -0.5, v[8:9]
	v_add_f64 v[91:92], v[42:43], -v[58:59]
	v_add_f64 v[93:94], v[24:25], v[54:55]
	v_add_f64 v[8:9], v[8:9], v[10:11]
	v_add_f64 v[10:11], v[18:19], -v[10:11]
	v_add_f64 v[101:102], v[46:47], -v[54:55]
	;; [unrolled: 1-line block ×3, first 2 shown]
	v_fma_f64 v[85:86], v[36:37], s[4:5], v[60:61]
	v_fma_f64 v[87:88], v[40:41], s[6:7], v[72:73]
	;; [unrolled: 1-line block ×4, first 2 shown]
	v_add_f64 v[95:96], v[48:49], -v[14:15]
	v_add_f64 v[99:100], v[52:53], -v[16:17]
	v_add_f64 v[62:63], v[62:63], v[64:65]
	v_fma_f64 v[64:65], v[66:67], -0.5, v[24:25]
	v_fma_f64 v[24:25], v[70:71], -0.5, v[24:25]
	v_add_f64 v[66:67], v[81:82], v[83:84]
	v_fma_f64 v[70:71], v[79:80], s[6:7], v[32:33]
	v_fma_f64 v[81:82], v[68:69], s[4:5], v[12:13]
	;; [unrolled: 1-line block ×4, first 2 shown]
	v_add_f64 v[89:90], v[89:90], v[91:92]
	v_add_f64 v[8:9], v[8:9], v[18:19]
	;; [unrolled: 1-line block ×4, first 2 shown]
	v_fma_f64 v[83:84], v[40:41], s[10:11], v[85:86]
	v_fma_f64 v[85:86], v[36:37], s[10:11], v[87:88]
	v_fma_f64 v[36:37], v[36:37], s[14:15], v[72:73]
	v_fma_f64 v[40:41], v[40:41], s[14:15], v[60:61]
	v_add_f64 v[60:61], v[54:55], -v[46:47]
	v_add_f64 v[87:88], v[56:57], -v[20:21]
	v_fma_f64 v[91:92], v[95:96], s[6:7], v[64:65]
	v_fma_f64 v[93:94], v[99:100], s[4:5], v[24:25]
	;; [unrolled: 1-line block ×7, first 2 shown]
	v_add_f64 v[79:80], v[101:102], v[103:104]
	v_add_f64 v[8:9], v[8:9], v[58:59]
	;; [unrolled: 1-line block ×3, first 2 shown]
	v_fma_f64 v[72:73], v[62:63], s[16:17], v[83:84]
	v_fma_f64 v[70:71], v[66:67], s[16:17], v[85:86]
	;; [unrolled: 1-line block ×5, first 2 shown]
	v_add_f64 v[40:41], v[60:61], v[87:88]
	v_fma_f64 v[83:84], v[99:100], s[14:15], v[91:92]
	v_fma_f64 v[85:86], v[95:96], s[14:15], v[93:94]
	;; [unrolled: 1-line block ×7, first 2 shown]
	v_add_f64 v[8:9], v[8:9], v[42:43]
	v_add_f64 v[18:19], v[18:19], v[56:57]
	v_mul_f64 v[10:11], v[72:73], s[14:15]
	v_mul_f64 v[12:13], v[70:71], s[6:7]
	;; [unrolled: 1-line block ×3, first 2 shown]
	v_fma_f64 v[36:37], v[99:100], s[10:11], v[36:37]
	v_mul_f64 v[32:33], v[64:65], s[14:15]
	v_fma_f64 v[42:43], v[40:41], s[16:17], v[83:84]
	v_fma_f64 v[83:84], v[79:80], s[16:17], v[85:86]
	;; [unrolled: 1-line block ×3, first 2 shown]
	v_add_f64 v[85:86], v[18:19], -v[8:9]
	v_fma_f64 v[10:11], v[58:59], s[18:19], v[10:11]
	v_fma_f64 v[12:13], v[60:61], s[16:17], v[12:13]
	;; [unrolled: 1-line block ×5, first 2 shown]
	v_add_f64 v[40:41], v[18:19], v[8:9]
	v_mov_b32_e32 v81, 0xc80
	v_mov_b32_e32 v82, 3
	v_cmp_gt_u32_e64 s0, 0xa0, v74
	v_add_f64 v[87:88], v[42:43], v[10:11]
	v_add_f64 v[89:90], v[83:84], v[12:13]
	;; [unrolled: 1-line block ×3, first 2 shown]
	v_add_f64 v[8:9], v[42:43], -v[10:11]
	v_add_f64 v[42:43], v[36:37], v[32:33]
	v_add_f64 v[10:11], v[83:84], -v[12:13]
	v_add_f64 v[12:13], v[24:25], -v[79:80]
	;; [unrolled: 1-line block ×3, first 2 shown]
	v_mul_u32_u24_sdwa v24, v38, v81 dst_sel:DWORD dst_unused:UNUSED_PAD src0_sel:WORD_0 src1_sel:DWORD
	v_lshlrev_b32_sdwa v25, v82, v39 dst_sel:DWORD dst_unused:UNUSED_PAD src0_sel:DWORD src1_sel:BYTE_0
	v_add3_u32 v79, 0, v24, v25
	v_add_nc_u32_e32 v80, 0x400, v79
	v_add_nc_u32_e32 v81, 0x800, v79
	ds_write2_b64 v79, v[40:41], v[87:88] offset1:40
	ds_write2_b64 v79, v[89:90], v[91:92] offset0:80 offset1:120
	ds_write2_b64 v79, v[42:43], v[85:86] offset0:160 offset1:200
	;; [unrolled: 1-line block ×4, first 2 shown]
	s_waitcnt lgkmcnt(0)
	s_barrier
	buffer_gl0_inv
	ds_read_b64 v[24:25], v77
	ds_read_b64 v[38:39], v77 offset:3200
	ds_read_b64 v[32:33], v77 offset:6400
	;; [unrolled: 1-line block ×5, first 2 shown]
	s_and_saveexec_b32 s1, s0
	s_cbranch_execz .LBB0_21
; %bb.20:
	ds_read_b64 v[10:11], v77 offset:5120
	ds_read_b64 v[12:13], v77 offset:8320
	;; [unrolled: 1-line block ×4, first 2 shown]
	ds_read_b64 v[8:9], v78
	ds_read_b64 v[2:3], v77 offset:17920
.LBB0_21:
	s_or_b32 exec_lo, exec_lo, s1
	v_add_f64 v[82:83], v[52:53], v[16:17]
	v_add_f64 v[84:85], v[48:49], v[14:15]
	;; [unrolled: 1-line block ×3, first 2 shown]
	v_add_f64 v[54:55], v[54:55], -v[56:57]
	v_add_f64 v[22:23], v[22:23], v[34:35]
	v_add_f64 v[20:21], v[46:47], -v[20:21]
	v_add_f64 v[46:47], v[48:49], -v[52:53]
	;; [unrolled: 1-line block ×4, first 2 shown]
	v_mul_f64 v[72:73], v[72:73], s[18:19]
	v_mul_f64 v[70:71], v[70:71], s[16:17]
	;; [unrolled: 1-line block ×4, first 2 shown]
	s_waitcnt lgkmcnt(0)
	s_barrier
	buffer_gl0_inv
	v_fma_f64 v[34:35], v[82:83], -0.5, v[44:45]
	v_fma_f64 v[44:45], v[84:85], -0.5, v[44:45]
	v_add_f64 v[52:53], v[86:87], v[52:53]
	v_add_f64 v[22:23], v[22:23], v[30:31]
	v_add_f64 v[30:31], v[16:17], -v[14:15]
	v_add_f64 v[46:47], v[46:47], v[56:57]
	v_fma_f64 v[82:83], v[54:55], s[4:5], v[34:35]
	v_fma_f64 v[84:85], v[20:21], s[6:7], v[44:45]
	;; [unrolled: 1-line block ×4, first 2 shown]
	v_add_f64 v[16:17], v[52:53], v[16:17]
	v_add_f64 v[22:23], v[22:23], v[28:29]
	v_add_f64 v[28:29], v[48:49], v[30:31]
	v_fma_f64 v[52:53], v[60:61], s[4:5], v[70:71]
	v_fma_f64 v[30:31], v[20:21], s[10:11], v[82:83]
	;; [unrolled: 1-line block ×6, first 2 shown]
	v_add_f64 v[14:15], v[16:17], v[14:15]
	v_add_f64 v[16:17], v[22:23], v[26:27]
	v_fma_f64 v[54:55], v[62:63], s[4:5], -v[66:67]
	v_fma_f64 v[22:23], v[68:69], s[10:11], -v[64:65]
	v_fma_f64 v[26:27], v[46:47], s[16:17], v[30:31]
	v_fma_f64 v[30:31], v[28:29], s[16:17], v[48:49]
	;; [unrolled: 1-line block ×4, first 2 shown]
	v_add_f64 v[46:47], v[14:15], v[16:17]
	v_add_f64 v[48:49], v[14:15], -v[16:17]
	v_add_f64 v[56:57], v[26:27], v[34:35]
	v_add_f64 v[58:59], v[30:31], v[52:53]
	;; [unrolled: 1-line block ×4, first 2 shown]
	v_add_f64 v[14:15], v[26:27], -v[34:35]
	v_add_f64 v[20:21], v[30:31], -v[52:53]
	v_add_f64 v[16:17], v[28:29], -v[54:55]
	v_add_f64 v[22:23], v[44:45], -v[22:23]
	ds_write2_b64 v79, v[46:47], v[56:57] offset1:40
	ds_write2_b64 v79, v[58:59], v[60:61] offset0:80 offset1:120
	ds_write2_b64 v79, v[62:63], v[48:49] offset0:160 offset1:200
	;; [unrolled: 1-line block ×4, first 2 shown]
	s_waitcnt lgkmcnt(0)
	s_barrier
	buffer_gl0_inv
	ds_read_b64 v[26:27], v77
	ds_read_b64 v[28:29], v77 offset:3200
	ds_read_b64 v[30:31], v77 offset:6400
	;; [unrolled: 1-line block ×5, first 2 shown]
	s_and_saveexec_b32 s1, s0
	s_cbranch_execz .LBB0_23
; %bb.22:
	ds_read_b64 v[20:21], v77 offset:5120
	ds_read_b64 v[16:17], v77 offset:8320
	;; [unrolled: 1-line block ×4, first 2 shown]
	ds_read_b64 v[14:15], v78
	ds_read_b64 v[6:7], v77 offset:17920
.LBB0_23:
	s_or_b32 exec_lo, exec_lo, s1
	s_and_saveexec_b32 s1, vcc_lo
	s_cbranch_execz .LBB0_26
; %bb.24:
	v_mul_u32_u24_e32 v48, 5, v74
	s_mov_b32 s6, 0xe8584caa
	s_mov_b32 s7, 0xbfebb67a
	;; [unrolled: 1-line block ×4, first 2 shown]
	v_lshlrev_b32_e32 v48, 4, v48
	v_add_nc_u32_e32 v82, 0x190, v74
	v_add_nc_u32_e32 v84, 0x320, v74
	v_add_nc_u32_e32 v86, 0x7d0, v74
	v_add_nc_u32_e32 v85, 0x640, v74
	v_add_co_u32 v52, s1, s8, v48
	v_add_co_ci_u32_e64 v53, null, s9, 0, s1
	v_add_co_u32 v48, vcc_lo, 0x18c0, v52
	v_add_co_ci_u32_e32 v49, vcc_lo, 0, v53, vcc_lo
	v_add_co_u32 v60, vcc_lo, 0x1800, v52
	v_add_co_ci_u32_e32 v61, vcc_lo, 0, v53, vcc_lo
	s_clause 0x4
	global_load_dwordx4 v[52:55], v[48:49], off offset:32
	global_load_dwordx4 v[56:59], v[60:61], off offset:256
	;; [unrolled: 1-line block ×5, first 2 shown]
	s_waitcnt vmcnt(4)
	v_mul_f64 v[48:49], v[40:41], v[54:55]
	s_waitcnt vmcnt(3)
	v_mul_f64 v[72:73], v[42:43], v[58:59]
	s_waitcnt lgkmcnt(2)
	v_mul_f64 v[54:55], v[44:45], v[54:55]
	s_waitcnt lgkmcnt(0)
	v_mul_f64 v[58:59], v[46:47], v[58:59]
	s_waitcnt vmcnt(2)
	v_mul_f64 v[77:78], v[38:39], v[62:63]
	v_mul_f64 v[79:80], v[38:39], v[60:61]
	v_mov_b32_e32 v38, 0
	v_fma_f64 v[44:45], v[44:45], v[52:53], -v[48:49]
	v_fma_f64 v[46:47], v[46:47], v[56:57], -v[72:73]
	s_waitcnt vmcnt(1)
	v_mul_f64 v[48:49], v[32:33], v[66:67]
	s_waitcnt vmcnt(0)
	v_mul_f64 v[72:73], v[36:37], v[70:71]
	v_mul_f64 v[66:67], v[30:31], v[66:67]
	;; [unrolled: 1-line block ×3, first 2 shown]
	v_fma_f64 v[39:40], v[40:41], v[52:53], v[54:55]
	v_fma_f64 v[41:42], v[42:43], v[56:57], v[58:59]
	v_fma_f64 v[52:53], v[28:29], v[60:61], -v[77:78]
	v_fma_f64 v[28:29], v[28:29], v[62:63], v[79:80]
	v_mad_u64_u32 v[56:57], null, s2, v74, 0
	v_mad_u64_u32 v[58:59], null, s2, v76, 0
	v_mad_u64_u32 v[62:63], null, s2, v82, 0
	v_mov_b32_e32 v43, v57
	v_mov_b32_e32 v57, v59
	v_add_f64 v[54:55], v[44:45], v[46:47]
	v_fma_f64 v[30:31], v[30:31], v[64:65], -v[48:49]
	v_fma_f64 v[34:35], v[34:35], v[68:69], -v[72:73]
	v_fma_f64 v[32:33], v[32:33], v[64:65], v[66:67]
	v_fma_f64 v[36:37], v[36:37], v[68:69], v[70:71]
	v_mad_u64_u32 v[70:71], null, s3, v74, v[43:44]
	v_add_f64 v[48:49], v[39:40], v[41:42]
	v_add_f64 v[60:61], v[39:40], -v[41:42]
	v_mad_u64_u32 v[71:72], null, s3, v76, v[57:58]
	v_add_f64 v[76:77], v[44:45], -v[46:47]
	v_mad_u64_u32 v[64:65], null, s2, v84, 0
	v_mad_u64_u32 v[68:69], null, s2, v86, 0
	;; [unrolled: 1-line block ×3, first 2 shown]
	v_mov_b32_e32 v43, v63
	v_mov_b32_e32 v59, v65
	v_fma_f64 v[54:55], v[54:55], -0.5, v[52:53]
	v_mad_u64_u32 v[82:83], null, s3, v82, v[43:44]
	v_add_f64 v[72:73], v[30:31], v[34:35]
	v_add_f64 v[78:79], v[32:33], v[36:37]
	v_mov_b32_e32 v57, v67
	v_add_f64 v[87:88], v[26:27], v[30:31]
	v_fma_f64 v[48:49], v[48:49], -0.5, v[28:29]
	v_add_f64 v[43:44], v[44:45], v[52:53]
	v_add_f64 v[28:29], v[39:40], v[28:29]
	v_add_f64 v[30:31], v[30:31], -v[34:35]
	v_mov_b32_e32 v63, v82
	v_fma_f64 v[80:81], v[60:61], s[6:7], v[54:55]
	v_fma_f64 v[54:55], v[60:61], s[4:5], v[54:55]
	v_mov_b32_e32 v60, v69
	v_fma_f64 v[26:27], v[72:73], -0.5, v[26:27]
	v_fma_f64 v[39:40], v[78:79], -0.5, v[24:25]
	v_add_f64 v[34:35], v[87:88], v[34:35]
	v_mad_u64_u32 v[83:84], null, s3, v84, v[59:60]
	v_mad_u64_u32 v[84:85], null, s3, v85, v[57:58]
	;; [unrolled: 1-line block ×3, first 2 shown]
	v_add_f64 v[85:86], v[32:33], -v[36:37]
	v_add_f64 v[32:33], v[24:25], v[32:33]
	v_fma_f64 v[52:53], v[76:77], s[4:5], v[48:49]
	v_fma_f64 v[48:49], v[76:77], s[6:7], v[48:49]
	v_mov_b32_e32 v57, v70
	v_add_co_u32 v24, vcc_lo, s12, v50
	v_add_f64 v[43:44], v[46:47], v[43:44]
	v_add_f64 v[41:42], v[41:42], v[28:29]
	v_mul_f64 v[72:73], v[80:81], -0.5
	v_mul_f64 v[76:77], v[54:55], 0.5
	v_mul_f64 v[54:55], v[54:55], s[6:7]
	v_mul_f64 v[78:79], v[80:81], s[6:7]
	v_add_co_ci_u32_e32 v25, vcc_lo, s13, v51, vcc_lo
	v_mov_b32_e32 v59, v71
	v_lshlrev_b64 v[50:51], 4, v[56:57]
	v_mov_b32_e32 v69, v60
	v_fma_f64 v[60:61], v[30:31], s[4:5], v[39:40]
	v_mov_b32_e32 v67, v84
	v_mov_b32_e32 v65, v83
	v_fma_f64 v[45:46], v[85:86], s[6:7], v[26:27]
	v_add_f64 v[36:37], v[32:33], v[36:37]
	v_fma_f64 v[56:57], v[85:86], s[4:5], v[26:27]
	v_lshlrev_b64 v[26:27], 4, v[58:59]
	v_lshlrev_b64 v[58:59], 4, v[64:65]
	;; [unrolled: 1-line block ×3, first 2 shown]
	v_add_f64 v[32:33], v[34:35], v[43:44]
	v_add_f64 v[28:29], v[34:35], -v[43:44]
	v_fma_f64 v[70:71], v[52:53], s[4:5], v[72:73]
	v_fma_f64 v[72:73], v[30:31], s[6:7], v[39:40]
	v_fma_f64 v[76:77], v[48:49], s[4:5], v[76:77]
	v_fma_f64 v[47:48], v[48:49], 0.5, v[54:55]
	v_fma_f64 v[52:53], v[52:53], -0.5, v[78:79]
	v_lshlrev_b64 v[54:55], 4, v[62:63]
	v_lshlrev_b64 v[62:63], 4, v[66:67]
	v_add_co_u32 v66, vcc_lo, v24, v50
	v_add_co_ci_u32_e32 v67, vcc_lo, v25, v51, vcc_lo
	v_add_co_u32 v68, vcc_lo, v24, v26
	v_add_co_ci_u32_e32 v69, vcc_lo, v25, v27, vcc_lo
	v_add_f64 v[30:31], v[36:37], v[41:42]
	v_add_f64 v[26:27], v[36:37], -v[41:42]
	v_add_co_u32 v51, vcc_lo, v24, v54
	v_add_f64 v[36:37], v[45:46], -v[70:71]
	v_add_f64 v[41:42], v[45:46], v[70:71]
	v_add_f64 v[45:46], v[56:57], v[76:77]
	;; [unrolled: 1-line block ×4, first 2 shown]
	v_add_f64 v[49:50], v[56:57], -v[76:77]
	v_add_f64 v[47:48], v[72:73], -v[47:48]
	;; [unrolled: 1-line block ×3, first 2 shown]
	v_add_co_ci_u32_e32 v52, vcc_lo, v25, v55, vcc_lo
	v_add_co_u32 v53, vcc_lo, v24, v58
	v_add_co_ci_u32_e32 v54, vcc_lo, v25, v59, vcc_lo
	v_add_co_u32 v55, vcc_lo, v24, v62
	;; [unrolled: 2-line block ×3, first 2 shown]
	v_add_co_ci_u32_e32 v58, vcc_lo, v25, v65, vcc_lo
	global_store_dwordx4 v[66:67], v[30:33], off
	global_store_dwordx4 v[51:52], v[43:46], off
	;; [unrolled: 1-line block ×6, first 2 shown]
	s_and_b32 exec_lo, exec_lo, s0
	s_cbranch_execz .LBB0_26
; %bb.25:
	v_add_nc_u32_e32 v26, 0xffffff60, v74
	v_add_nc_u32_e32 v52, 0xf0, v74
	;; [unrolled: 1-line block ×5, first 2 shown]
	v_cndmask_b32_e64 v26, v26, v75, s0
	v_add_nc_u32_e32 v56, 0x730, v74
	v_add_nc_u32_e32 v60, 0x8c0, v74
	v_mul_i32_i24_e32 v37, 5, v26
	v_lshlrev_b64 v[26:27], 4, v[37:38]
	v_add_co_u32 v26, vcc_lo, s8, v26
	v_add_co_ci_u32_e32 v27, vcc_lo, s9, v27, vcc_lo
	v_add_co_u32 v42, vcc_lo, 0x18c0, v26
	v_add_co_ci_u32_e32 v43, vcc_lo, 0, v27, vcc_lo
	;; [unrolled: 2-line block ×3, first 2 shown]
	s_clause 0x4
	global_load_dwordx4 v[26:29], v[42:43], off offset:32
	global_load_dwordx4 v[30:33], v[34:35], off offset:256
	;; [unrolled: 1-line block ×5, first 2 shown]
	s_waitcnt vmcnt(4)
	v_mul_f64 v[46:47], v[18:19], v[28:29]
	s_waitcnt vmcnt(3)
	v_mul_f64 v[48:49], v[2:3], v[32:33]
	v_mul_f64 v[28:29], v[22:23], v[28:29]
	v_mul_f64 v[32:33], v[6:7], v[32:33]
	s_waitcnt vmcnt(2)
	v_mul_f64 v[50:51], v[10:11], v[36:37]
	v_mul_f64 v[36:37], v[20:21], v[36:37]
	v_fma_f64 v[22:23], v[22:23], v[26:27], -v[46:47]
	v_fma_f64 v[6:7], v[6:7], v[30:31], -v[48:49]
	v_fma_f64 v[18:19], v[18:19], v[26:27], v[28:29]
	v_fma_f64 v[2:3], v[2:3], v[30:31], v[32:33]
	s_waitcnt vmcnt(1)
	v_mul_f64 v[46:47], v[16:17], v[40:41]
	s_waitcnt vmcnt(0)
	v_mul_f64 v[48:49], v[4:5], v[44:45]
	v_fma_f64 v[20:21], v[20:21], v[34:35], -v[50:51]
	v_mul_f64 v[40:41], v[12:13], v[40:41]
	v_mul_f64 v[44:45], v[0:1], v[44:45]
	v_fma_f64 v[10:11], v[10:11], v[34:35], v[36:37]
	v_mad_u64_u32 v[28:29], null, s2, v52, 0
	v_mad_u64_u32 v[34:35], null, s2, v53, 0
	;; [unrolled: 1-line block ×3, first 2 shown]
	v_add_f64 v[26:27], v[22:23], v[6:7]
	v_add_f64 v[30:31], v[18:19], v[2:3]
	v_fma_f64 v[12:13], v[12:13], v[38:39], v[46:47]
	v_fma_f64 v[0:1], v[0:1], v[42:43], v[48:49]
	v_add_f64 v[32:33], v[18:19], -v[2:3]
	v_fma_f64 v[16:17], v[16:17], v[38:39], -v[40:41]
	v_fma_f64 v[4:5], v[4:5], v[42:43], -v[44:45]
	v_add_f64 v[48:49], v[22:23], -v[6:7]
	v_mad_u64_u32 v[38:39], null, s2, v55, 0
	v_mad_u64_u32 v[40:41], null, s2, v56, 0
	;; [unrolled: 1-line block ×3, first 2 shown]
	v_fma_f64 v[26:27], v[26:27], -0.5, v[20:21]
	v_fma_f64 v[30:31], v[30:31], -0.5, v[10:11]
	v_add_f64 v[10:11], v[10:11], v[18:19]
	v_add_f64 v[44:45], v[12:13], v[0:1]
	;; [unrolled: 1-line block ×4, first 2 shown]
	v_add_f64 v[58:59], v[16:17], -v[4:5]
	v_add_f64 v[16:17], v[14:15], v[16:17]
	v_fma_f64 v[50:51], v[32:33], s[4:5], v[26:27]
	v_fma_f64 v[26:27], v[32:33], s[6:7], v[26:27]
	v_mad_u64_u32 v[32:33], null, s3, v52, v[29:30]
	v_mad_u64_u32 v[52:53], null, s3, v53, v[35:36]
	;; [unrolled: 1-line block ×5, first 2 shown]
	v_add_f64 v[56:57], v[8:9], v[12:13]
	v_fma_f64 v[8:9], v[44:45], -0.5, v[8:9]
	v_add_f64 v[12:13], v[12:13], -v[0:1]
	v_fma_f64 v[14:15], v[46:47], -0.5, v[14:15]
	v_fma_f64 v[20:21], v[48:49], s[6:7], v[30:31]
	v_fma_f64 v[22:23], v[48:49], s[4:5], v[30:31]
	v_mov_b32_e32 v29, v32
	v_add_f64 v[16:17], v[16:17], v[4:5]
	v_add_f64 v[4:5], v[10:11], v[2:3]
	v_add_f64 v[6:7], v[18:19], v[6:7]
	v_mul_f64 v[30:31], v[50:51], s[6:7]
	v_mul_f64 v[44:45], v[26:27], s[6:7]
	v_mul_f64 v[46:47], v[50:51], 0.5
	v_mul_f64 v[26:27], v[26:27], -0.5
	v_mov_b32_e32 v35, v52
	v_mov_b32_e32 v37, v53
	;; [unrolled: 1-line block ×4, first 2 shown]
	v_lshlrev_b64 v[2:3], 4, v[34:35]
	v_add_f64 v[32:33], v[56:57], v[0:1]
	v_fma_f64 v[18:19], v[58:59], s[6:7], v[8:9]
	v_lshlrev_b64 v[0:1], 4, v[28:29]
	v_fma_f64 v[50:51], v[12:13], s[4:5], v[14:15]
	v_fma_f64 v[52:53], v[12:13], s[6:7], v[14:15]
	v_lshlrev_b64 v[28:29], 4, v[38:39]
	v_lshlrev_b64 v[34:35], 4, v[40:41]
	v_add_co_u32 v38, vcc_lo, v24, v0
	v_fma_f64 v[30:31], v[20:21], 0.5, v[30:31]
	v_mad_u64_u32 v[48:49], null, s3, v60, v[43:44]
	v_fma_f64 v[46:47], v[20:21], s[4:5], v[46:47]
	v_fma_f64 v[44:45], v[22:23], -0.5, v[44:45]
	v_fma_f64 v[22:23], v[22:23], s[4:5], v[26:27]
	v_add_co_ci_u32_e32 v39, vcc_lo, v25, v1, vcc_lo
	v_add_co_u32 v40, vcc_lo, v24, v2
	v_mov_b32_e32 v43, v48
	v_fma_f64 v[48:49], v[58:59], s[4:5], v[8:9]
	v_add_co_ci_u32_e32 v41, vcc_lo, v25, v3, vcc_lo
	v_add_f64 v[0:1], v[32:33], v[4:5]
	v_add_f64 v[2:3], v[16:17], v[6:7]
	v_add_f64 v[4:5], v[32:33], -v[4:5]
	v_add_f64 v[6:7], v[16:17], -v[6:7]
	v_lshlrev_b64 v[26:27], 4, v[36:37]
	v_lshlrev_b64 v[36:37], 4, v[42:43]
	v_add_f64 v[8:9], v[18:19], v[30:31]
	v_add_f64 v[16:17], v[18:19], -v[30:31]
	v_add_co_u32 v26, vcc_lo, v24, v26
	v_add_f64 v[10:11], v[50:51], v[46:47]
	v_add_f64 v[14:15], v[52:53], v[22:23]
	v_add_f64 v[18:19], v[50:51], -v[46:47]
	v_add_f64 v[22:23], v[52:53], -v[22:23]
	v_add_co_ci_u32_e32 v27, vcc_lo, v25, v27, vcc_lo
	v_add_co_u32 v28, vcc_lo, v24, v28
	v_add_f64 v[12:13], v[48:49], v[44:45]
	v_add_f64 v[20:21], v[48:49], -v[44:45]
	v_add_co_ci_u32_e32 v29, vcc_lo, v25, v29, vcc_lo
	v_add_co_u32 v30, vcc_lo, v24, v34
	v_add_co_ci_u32_e32 v31, vcc_lo, v25, v35, vcc_lo
	v_add_co_u32 v24, vcc_lo, v24, v36
	v_add_co_ci_u32_e32 v25, vcc_lo, v25, v37, vcc_lo
	global_store_dwordx4 v[38:39], v[0:3], off
	global_store_dwordx4 v[40:41], v[8:11], off
	;; [unrolled: 1-line block ×6, first 2 shown]
.LBB0_26:
	s_endpgm
	.section	.rodata,"a",@progbits
	.p2align	6, 0x0
	.amdhsa_kernel fft_rtc_back_len2400_factors_4_10_10_6_wgs_240_tpt_240_halfLds_dp_ip_CI_sbrr_dirReg
		.amdhsa_group_segment_fixed_size 0
		.amdhsa_private_segment_fixed_size 0
		.amdhsa_kernarg_size 88
		.amdhsa_user_sgpr_count 6
		.amdhsa_user_sgpr_private_segment_buffer 1
		.amdhsa_user_sgpr_dispatch_ptr 0
		.amdhsa_user_sgpr_queue_ptr 0
		.amdhsa_user_sgpr_kernarg_segment_ptr 1
		.amdhsa_user_sgpr_dispatch_id 0
		.amdhsa_user_sgpr_flat_scratch_init 0
		.amdhsa_user_sgpr_private_segment_size 0
		.amdhsa_wavefront_size32 1
		.amdhsa_uses_dynamic_stack 0
		.amdhsa_system_sgpr_private_segment_wavefront_offset 0
		.amdhsa_system_sgpr_workgroup_id_x 1
		.amdhsa_system_sgpr_workgroup_id_y 0
		.amdhsa_system_sgpr_workgroup_id_z 0
		.amdhsa_system_sgpr_workgroup_info 0
		.amdhsa_system_vgpr_workitem_id 0
		.amdhsa_next_free_vgpr 122
		.amdhsa_next_free_sgpr 23
		.amdhsa_reserve_vcc 1
		.amdhsa_reserve_flat_scratch 0
		.amdhsa_float_round_mode_32 0
		.amdhsa_float_round_mode_16_64 0
		.amdhsa_float_denorm_mode_32 3
		.amdhsa_float_denorm_mode_16_64 3
		.amdhsa_dx10_clamp 1
		.amdhsa_ieee_mode 1
		.amdhsa_fp16_overflow 0
		.amdhsa_workgroup_processor_mode 1
		.amdhsa_memory_ordered 1
		.amdhsa_forward_progress 0
		.amdhsa_shared_vgpr_count 0
		.amdhsa_exception_fp_ieee_invalid_op 0
		.amdhsa_exception_fp_denorm_src 0
		.amdhsa_exception_fp_ieee_div_zero 0
		.amdhsa_exception_fp_ieee_overflow 0
		.amdhsa_exception_fp_ieee_underflow 0
		.amdhsa_exception_fp_ieee_inexact 0
		.amdhsa_exception_int_div_zero 0
	.end_amdhsa_kernel
	.text
.Lfunc_end0:
	.size	fft_rtc_back_len2400_factors_4_10_10_6_wgs_240_tpt_240_halfLds_dp_ip_CI_sbrr_dirReg, .Lfunc_end0-fft_rtc_back_len2400_factors_4_10_10_6_wgs_240_tpt_240_halfLds_dp_ip_CI_sbrr_dirReg
                                        ; -- End function
	.section	.AMDGPU.csdata,"",@progbits
; Kernel info:
; codeLenInByte = 8940
; NumSgprs: 25
; NumVgprs: 122
; ScratchSize: 0
; MemoryBound: 1
; FloatMode: 240
; IeeeMode: 1
; LDSByteSize: 0 bytes/workgroup (compile time only)
; SGPRBlocks: 3
; VGPRBlocks: 15
; NumSGPRsForWavesPerEU: 25
; NumVGPRsForWavesPerEU: 122
; Occupancy: 8
; WaveLimiterHint : 1
; COMPUTE_PGM_RSRC2:SCRATCH_EN: 0
; COMPUTE_PGM_RSRC2:USER_SGPR: 6
; COMPUTE_PGM_RSRC2:TRAP_HANDLER: 0
; COMPUTE_PGM_RSRC2:TGID_X_EN: 1
; COMPUTE_PGM_RSRC2:TGID_Y_EN: 0
; COMPUTE_PGM_RSRC2:TGID_Z_EN: 0
; COMPUTE_PGM_RSRC2:TIDIG_COMP_CNT: 0
	.text
	.p2alignl 6, 3214868480
	.fill 48, 4, 3214868480
	.type	__hip_cuid_d4eb9c63b54aa541,@object ; @__hip_cuid_d4eb9c63b54aa541
	.section	.bss,"aw",@nobits
	.globl	__hip_cuid_d4eb9c63b54aa541
__hip_cuid_d4eb9c63b54aa541:
	.byte	0                               ; 0x0
	.size	__hip_cuid_d4eb9c63b54aa541, 1

	.ident	"AMD clang version 19.0.0git (https://github.com/RadeonOpenCompute/llvm-project roc-6.4.0 25133 c7fe45cf4b819c5991fe208aaa96edf142730f1d)"
	.section	".note.GNU-stack","",@progbits
	.addrsig
	.addrsig_sym __hip_cuid_d4eb9c63b54aa541
	.amdgpu_metadata
---
amdhsa.kernels:
  - .args:
      - .actual_access:  read_only
        .address_space:  global
        .offset:         0
        .size:           8
        .value_kind:     global_buffer
      - .offset:         8
        .size:           8
        .value_kind:     by_value
      - .actual_access:  read_only
        .address_space:  global
        .offset:         16
        .size:           8
        .value_kind:     global_buffer
      - .actual_access:  read_only
        .address_space:  global
        .offset:         24
        .size:           8
        .value_kind:     global_buffer
      - .offset:         32
        .size:           8
        .value_kind:     by_value
      - .actual_access:  read_only
        .address_space:  global
        .offset:         40
        .size:           8
        .value_kind:     global_buffer
      - .actual_access:  read_only
        .address_space:  global
        .offset:         48
        .size:           8
        .value_kind:     global_buffer
      - .offset:         56
        .size:           4
        .value_kind:     by_value
      - .actual_access:  read_only
        .address_space:  global
        .offset:         64
        .size:           8
        .value_kind:     global_buffer
      - .actual_access:  read_only
        .address_space:  global
        .offset:         72
        .size:           8
        .value_kind:     global_buffer
      - .address_space:  global
        .offset:         80
        .size:           8
        .value_kind:     global_buffer
    .group_segment_fixed_size: 0
    .kernarg_segment_align: 8
    .kernarg_segment_size: 88
    .language:       OpenCL C
    .language_version:
      - 2
      - 0
    .max_flat_workgroup_size: 240
    .name:           fft_rtc_back_len2400_factors_4_10_10_6_wgs_240_tpt_240_halfLds_dp_ip_CI_sbrr_dirReg
    .private_segment_fixed_size: 0
    .sgpr_count:     25
    .sgpr_spill_count: 0
    .symbol:         fft_rtc_back_len2400_factors_4_10_10_6_wgs_240_tpt_240_halfLds_dp_ip_CI_sbrr_dirReg.kd
    .uniform_work_group_size: 1
    .uses_dynamic_stack: false
    .vgpr_count:     122
    .vgpr_spill_count: 0
    .wavefront_size: 32
    .workgroup_processor_mode: 1
amdhsa.target:   amdgcn-amd-amdhsa--gfx1030
amdhsa.version:
  - 1
  - 2
...

	.end_amdgpu_metadata
